;; amdgpu-corpus repo=ROCm/rocFFT kind=compiled arch=gfx906 opt=O3
	.text
	.amdgcn_target "amdgcn-amd-amdhsa--gfx906"
	.amdhsa_code_object_version 6
	.protected	bluestein_single_fwd_len147_dim1_sp_op_CI_CI ; -- Begin function bluestein_single_fwd_len147_dim1_sp_op_CI_CI
	.globl	bluestein_single_fwd_len147_dim1_sp_op_CI_CI
	.p2align	8
	.type	bluestein_single_fwd_len147_dim1_sp_op_CI_CI,@function
bluestein_single_fwd_len147_dim1_sp_op_CI_CI: ; @bluestein_single_fwd_len147_dim1_sp_op_CI_CI
; %bb.0:
	v_mul_u32_u24_e32 v1, 0xc31, v0
	s_load_dwordx4 s[8:11], s[4:5], 0x28
	v_lshrrev_b32_e32 v1, 16, v1
	v_mad_u64_u32 v[40:41], s[0:1], s6, 3, v[1:2]
	v_mov_b32_e32 v41, 0
	s_waitcnt lgkmcnt(0)
	v_cmp_gt_u64_e32 vcc, s[8:9], v[40:41]
	s_and_saveexec_b64 s[0:1], vcc
	s_cbranch_execz .LBB0_10
; %bb.1:
	s_load_dwordx4 s[0:3], s[4:5], 0x18
	s_load_dwordx4 s[12:15], s[4:5], 0x0
	v_mul_lo_u16_e32 v1, 21, v1
	v_sub_u16_e32 v60, v0, v1
	v_lshlrev_b32_e32 v61, 3, v60
	s_waitcnt lgkmcnt(0)
	s_load_dwordx4 s[16:19], s[0:1], 0x0
	global_load_dwordx2 v[51:52], v61, s[12:13]
	s_load_dwordx2 s[4:5], s[4:5], 0x38
                                        ; implicit-def: $vgpr57
	s_waitcnt lgkmcnt(0)
	v_mad_u64_u32 v[0:1], s[0:1], s18, v40, 0
	v_mad_u64_u32 v[2:3], s[0:1], s16, v60, 0
	v_mad_u64_u32 v[4:5], s[0:1], s19, v40, v[1:2]
	v_mad_u64_u32 v[5:6], s[0:1], s17, v60, v[3:4]
	v_mov_b32_e32 v1, v4
	v_lshlrev_b64 v[0:1], 3, v[0:1]
	v_mov_b32_e32 v6, s11
	v_mov_b32_e32 v3, v5
	v_add_co_u32_e32 v4, vcc, s10, v0
	v_addc_co_u32_e32 v5, vcc, v6, v1, vcc
	v_lshlrev_b64 v[0:1], 3, v[2:3]
	s_mul_i32 s0, s17, 0xa8
	v_add_co_u32_e32 v0, vcc, v4, v0
	s_mul_hi_u32 s1, s16, 0xa8
	v_addc_co_u32_e32 v1, vcc, v5, v1, vcc
	s_add_i32 s0, s1, s0
	s_mul_i32 s1, s16, 0xa8
	v_mov_b32_e32 v3, s0
	v_add_co_u32_e32 v2, vcc, s1, v0
	v_addc_co_u32_e32 v3, vcc, v1, v3, vcc
	v_mov_b32_e32 v5, s0
	v_add_co_u32_e32 v4, vcc, s1, v2
	v_addc_co_u32_e32 v5, vcc, v3, v5, vcc
	;; [unrolled: 3-line block ×3, first 2 shown]
	global_load_dwordx2 v[8:9], v[0:1], off
	global_load_dwordx2 v[10:11], v[2:3], off
	;; [unrolled: 1-line block ×4, first 2 shown]
	global_load_dwordx2 v[53:54], v61, s[12:13] offset:168
	global_load_dwordx2 v[49:50], v61, s[12:13] offset:336
	;; [unrolled: 1-line block ×3, first 2 shown]
	v_mov_b32_e32 v1, s0
	v_add_co_u32_e32 v0, vcc, s1, v6
	v_addc_co_u32_e32 v1, vcc, v7, v1, vcc
	global_load_dwordx2 v[2:3], v[0:1], off
	global_load_dwordx2 v[45:46], v61, s[12:13] offset:672
	v_mov_b32_e32 v4, s0
	v_add_co_u32_e32 v0, vcc, s1, v0
	v_addc_co_u32_e32 v1, vcc, v1, v4, vcc
	global_load_dwordx2 v[4:5], v[0:1], off
	global_load_dwordx2 v[43:44], v61, s[12:13] offset:840
	v_mov_b32_e32 v6, s0
	v_add_co_u32_e32 v0, vcc, s1, v0
	v_addc_co_u32_e32 v1, vcc, v1, v6, vcc
	global_load_dwordx2 v[41:42], v61, s[12:13] offset:1008
	global_load_dwordx2 v[6:7], v[0:1], off
	s_mov_b32 s0, 0xaaaaaaab
	v_mul_hi_u32 v0, v40, s0
	s_load_dwordx4 s[8:11], s[2:3], 0x0
	s_mov_b32 s2, 0x3f5ff5aa
	s_mov_b32 s0, 0x3f3bfb3b
	v_lshrrev_b32_e32 v0, 1, v0
	v_lshl_add_u32 v0, v0, 1, v0
	v_sub_u32_e32 v0, v40, v0
	v_mul_u32_u24_e32 v0, 0x93, v0
	v_lshlrev_b32_e32 v64, 3, v0
	v_add_u32_e32 v59, v61, v64
	s_mov_b32 s3, 0xbf3bfb3b
	s_mov_b32 s1, 0xbeae86e6
	v_add_co_u32_e32 v55, vcc, s12, v61
	s_waitcnt vmcnt(12)
	v_mul_f32_e32 v0, v9, v52
	v_mul_f32_e32 v1, v8, v52
	v_fmac_f32_e32 v0, v8, v51
	v_fma_f32 v1, v9, v51, -v1
	s_waitcnt vmcnt(8)
	v_mul_f32_e32 v8, v11, v54
	v_mul_f32_e32 v9, v10, v54
	v_fmac_f32_e32 v8, v10, v53
	v_fma_f32 v9, v11, v53, -v9
	s_waitcnt vmcnt(7)
	v_mul_f32_e32 v10, v13, v50
	v_mul_f32_e32 v11, v12, v50
	ds_write2_b64 v59, v[0:1], v[8:9] offset1:21
	s_waitcnt vmcnt(6)
	v_mul_f32_e32 v0, v15, v48
	v_mul_f32_e32 v1, v14, v48
	v_fmac_f32_e32 v10, v12, v49
	v_fma_f32 v11, v13, v49, -v11
	v_fmac_f32_e32 v0, v14, v47
	v_fma_f32 v1, v15, v47, -v1
	s_waitcnt vmcnt(4)
	v_mul_f32_e32 v8, v3, v46
	v_mul_f32_e32 v9, v2, v46
	ds_write2_b64 v59, v[10:11], v[0:1] offset0:42 offset1:63
	s_waitcnt vmcnt(2)
	v_mul_f32_e32 v0, v5, v44
	v_mul_f32_e32 v1, v4, v44
	v_fmac_f32_e32 v8, v2, v45
	v_fma_f32 v9, v3, v45, -v9
	v_fmac_f32_e32 v0, v4, v43
	v_fma_f32 v1, v5, v43, -v1
	ds_write2_b64 v59, v[8:9], v[0:1] offset0:84 offset1:105
	s_waitcnt vmcnt(0)
	v_mul_f32_e32 v0, v7, v42
	v_mul_f32_e32 v1, v6, v42
	v_fmac_f32_e32 v0, v6, v41
	v_fma_f32 v1, v7, v41, -v1
	ds_write_b64 v59, v[0:1] offset:1008
	s_waitcnt lgkmcnt(0)
	; wave barrier
	s_waitcnt lgkmcnt(0)
	ds_read2_b64 v[0:3], v59 offset1:21
	ds_read_b64 v[12:13], v59 offset:1008
	ds_read2_b64 v[4:7], v59 offset0:42 offset1:63
	ds_read2_b64 v[8:11], v59 offset0:84 offset1:105
	s_waitcnt lgkmcnt(0)
	; wave barrier
	s_waitcnt lgkmcnt(0)
	v_add_f32_e32 v14, v2, v12
	v_sub_f32_e32 v2, v2, v12
	v_add_f32_e32 v12, v4, v10
	v_add_f32_e32 v15, v3, v13
	v_sub_f32_e32 v3, v3, v13
	v_add_f32_e32 v13, v5, v11
	v_sub_f32_e32 v4, v4, v10
	;; [unrolled: 2-line block ×5, first 2 shown]
	v_add_f32_e32 v9, v13, v15
	v_add_f32_e32 v8, v10, v8
	;; [unrolled: 1-line block ×4, first 2 shown]
	v_sub_f32_e32 v16, v12, v14
	v_sub_f32_e32 v17, v13, v15
	;; [unrolled: 1-line block ×6, first 2 shown]
	v_add_f32_e32 v18, v6, v4
	v_add_f32_e32 v19, v7, v5
	v_sub_f32_e32 v20, v6, v4
	v_sub_f32_e32 v21, v7, v5
	v_add_f32_e32 v1, v1, v9
	v_mov_b32_e32 v22, v0
	v_sub_f32_e32 v6, v2, v6
	v_sub_f32_e32 v7, v3, v7
	;; [unrolled: 1-line block ×4, first 2 shown]
	v_add_f32_e32 v2, v18, v2
	v_add_f32_e32 v3, v19, v3
	v_mul_f32_e32 v10, 0x3f4a47b2, v14
	v_mul_f32_e32 v11, 0x3f4a47b2, v15
	;; [unrolled: 1-line block ×6, first 2 shown]
	v_fmac_f32_e32 v22, 0xbf955555, v8
	v_mov_b32_e32 v8, v1
	v_mul_f32_e32 v20, 0x3f5ff5aa, v4
	v_mul_f32_e32 v21, 0x3f5ff5aa, v5
	v_fmac_f32_e32 v8, 0xbf955555, v9
	v_fma_f32 v9, v16, s0, -v14
	v_fma_f32 v14, v17, s0, -v15
	v_fma_f32 v15, v16, s3, -v10
	v_fmac_f32_e32 v10, 0x3d64c772, v12
	v_fma_f32 v12, v17, s3, -v11
	v_fmac_f32_e32 v11, 0x3d64c772, v13
	v_fma_f32 v13, v4, s2, -v18
	;; [unrolled: 2-line block ×4, first 2 shown]
	v_fma_f32 v20, v7, s1, -v21
	v_add_f32_e32 v21, v10, v22
	v_add_f32_e32 v23, v11, v8
	;; [unrolled: 1-line block ×3, first 2 shown]
	v_fmac_f32_e32 v18, 0x3ee1c552, v2
	v_fmac_f32_e32 v19, 0x3ee1c552, v3
	v_mul_lo_u16_e32 v14, 7, v60
	v_add_f32_e32 v9, v9, v22
	v_add_f32_e32 v11, v15, v22
	;; [unrolled: 1-line block ×3, first 2 shown]
	v_fmac_f32_e32 v13, 0x3ee1c552, v2
	v_fmac_f32_e32 v16, 0x3ee1c552, v3
	;; [unrolled: 1-line block ×4, first 2 shown]
	v_add_f32_e32 v2, v21, v19
	v_sub_f32_e32 v3, v23, v18
	v_lshl_add_u32 v62, v14, 3, v64
	v_add_f32_e32 v4, v20, v11
	v_sub_f32_e32 v5, v12, v17
	v_sub_f32_e32 v6, v9, v16
	v_add_f32_e32 v7, v13, v10
	v_add_f32_e32 v8, v16, v9
	v_sub_f32_e32 v9, v10, v13
	v_sub_f32_e32 v10, v11, v20
	v_add_f32_e32 v11, v17, v12
	v_sub_f32_e32 v12, v21, v19
	v_add_f32_e32 v13, v18, v23
	ds_write2_b64 v62, v[0:1], v[2:3] offset1:1
	ds_write2_b64 v62, v[4:5], v[6:7] offset0:2 offset1:3
	ds_write2_b64 v62, v[8:9], v[10:11] offset0:4 offset1:5
	ds_write_b64 v62, v[12:13] offset:48
	v_mov_b32_e32 v0, 37
	v_mul_lo_u16_sdwa v0, v60, v0 dst_sel:DWORD dst_unused:UNUSED_PAD src0_sel:BYTE_0 src1_sel:DWORD
	v_sub_u16_sdwa v1, v60, v0 dst_sel:DWORD dst_unused:UNUSED_PAD src0_sel:DWORD src1_sel:BYTE_1
	v_lshrrev_b16_e32 v1, 1, v1
	v_and_b32_e32 v1, 0x7f, v1
	v_add_u16_sdwa v0, v1, v0 dst_sel:DWORD dst_unused:UNUSED_PAD src0_sel:DWORD src1_sel:BYTE_1
	v_lshrrev_b16_e32 v20, 2, v0
	v_mul_lo_u16_e32 v0, 7, v20
	v_sub_u16_e32 v21, v60, v0
	v_mov_b32_e32 v0, 6
	v_mul_u32_u24_sdwa v0, v21, v0 dst_sel:DWORD dst_unused:UNUSED_PAD src0_sel:BYTE_0 src1_sel:DWORD
	v_lshlrev_b32_e32 v12, 3, v0
	s_waitcnt lgkmcnt(0)
	; wave barrier
	s_waitcnt lgkmcnt(0)
	global_load_dwordx4 v[4:7], v12, s[14:15]
	global_load_dwordx4 v[0:3], v12, s[14:15] offset:16
	global_load_dwordx4 v[8:11], v12, s[14:15] offset:32
	ds_read2_b64 v[12:15], v59 offset0:42 offset1:63
	ds_read2_b64 v[16:19], v59 offset0:84 offset1:105
	s_waitcnt vmcnt(2) lgkmcnt(1)
	v_mul_f32_e32 v22, v13, v7
	v_fma_f32 v22, v12, v6, -v22
	v_mul_f32_e32 v23, v12, v7
	s_waitcnt vmcnt(1)
	v_mul_f32_e32 v12, v15, v1
	v_fma_f32 v24, v14, v0, -v12
	s_waitcnt lgkmcnt(0)
	v_mul_f32_e32 v12, v17, v3
	v_mul_f32_e32 v27, v16, v3
	v_fma_f32 v26, v16, v2, -v12
	v_fmac_f32_e32 v27, v17, v2
	ds_read_b64 v[16:17], v59 offset:1008
	v_mul_f32_e32 v25, v14, v1
	s_waitcnt vmcnt(0)
	v_mul_f32_e32 v12, v19, v9
	v_fmac_f32_e32 v23, v13, v6
	v_fmac_f32_e32 v25, v15, v0
	v_fma_f32 v28, v18, v8, -v12
	ds_read2_b64 v[12:15], v59 offset1:21
	v_mul_f32_e32 v18, v18, v9
	v_fmac_f32_e32 v18, v19, v8
	s_waitcnt lgkmcnt(1)
	v_mul_f32_e32 v19, v17, v11
	v_fma_f32 v19, v16, v10, -v19
	v_mul_f32_e32 v16, v16, v11
	v_fmac_f32_e32 v16, v17, v10
	s_waitcnt lgkmcnt(0)
	v_mul_f32_e32 v17, v15, v5
	v_fma_f32 v17, v14, v4, -v17
	v_mul_f32_e32 v14, v14, v5
	v_fmac_f32_e32 v14, v15, v4
	v_add_f32_e32 v15, v17, v19
	v_add_f32_e32 v29, v22, v28
	;; [unrolled: 1-line block ×6, first 2 shown]
	v_sub_f32_e32 v17, v17, v19
	v_sub_f32_e32 v14, v14, v16
	;; [unrolled: 1-line block ×4, first 2 shown]
	v_add_f32_e32 v31, v30, v31
	v_add_f32_e32 v34, v25, v27
	;; [unrolled: 1-line block ×3, first 2 shown]
	v_sub_f32_e32 v18, v23, v18
	v_sub_f32_e32 v22, v27, v25
	v_add_f32_e32 v28, v19, v16
	v_add_f32_e32 v35, v34, v35
	;; [unrolled: 1-line block ×3, first 2 shown]
	v_sub_f32_e32 v23, v29, v15
	v_sub_f32_e32 v24, v30, v29
	;; [unrolled: 1-line block ×5, first 2 shown]
	v_add_f32_e32 v17, v28, v17
	v_add_f32_e32 v28, v22, v18
	;; [unrolled: 1-line block ×3, first 2 shown]
	v_sub_f32_e32 v15, v15, v30
	v_sub_f32_e32 v25, v33, v32
	;; [unrolled: 1-line block ×6, first 2 shown]
	v_add_f32_e32 v28, v28, v14
	v_mov_b32_e32 v32, v12
	v_mul_u32_u24_e32 v14, 49, v20
	v_sub_f32_e32 v27, v34, v33
	v_fmac_f32_e32 v32, 0xbf955555, v31
	v_mov_b32_e32 v31, v13
	v_add_u32_sdwa v20, v14, v21 dst_sel:DWORD dst_unused:UNUSED_PAD src0_sel:DWORD src1_sel:BYTE_0
	v_mul_f32_e32 v14, 0x3f4a47b2, v15
	v_mul_f32_e32 v15, 0x3f4a47b2, v26
	;; [unrolled: 1-line block ×4, first 2 shown]
	v_fmac_f32_e32 v31, 0xbf955555, v35
	v_fma_f32 v29, v23, s3, -v14
	v_fmac_f32_e32 v14, 0x3d64c772, v24
	v_fma_f32 v30, v25, s3, -v15
	;; [unrolled: 2-line block ×4, first 2 shown]
	v_fmac_f32_e32 v26, 0x3eae86e6, v22
	v_add_f32_e32 v35, v14, v32
	v_add_f32_e32 v36, v15, v31
	v_fmac_f32_e32 v21, 0x3ee1c552, v17
	v_fmac_f32_e32 v26, 0x3ee1c552, v28
	v_add_f32_e32 v14, v26, v35
	v_sub_f32_e32 v15, v36, v21
	v_lshl_add_u32 v63, v20, 3, v64
	s_waitcnt lgkmcnt(0)
	; wave barrier
	ds_write2_b64 v63, v[12:13], v[14:15] offset1:7
	v_mul_f32_e32 v14, 0x3f5ff5aa, v16
	v_mul_f32_e32 v12, 0x3d64c772, v24
	;; [unrolled: 1-line block ×3, first 2 shown]
	v_fma_f32 v16, v19, s1, -v14
	v_mul_f32_e32 v14, 0x3f5ff5aa, v18
	v_fma_f32 v12, v23, s0, -v12
	v_fma_f32 v13, v25, s0, -v13
	;; [unrolled: 1-line block ×3, first 2 shown]
	v_add_f32_e32 v19, v12, v32
	v_add_f32_e32 v20, v29, v32
	;; [unrolled: 1-line block ×4, first 2 shown]
	v_fmac_f32_e32 v33, 0x3ee1c552, v17
	v_fmac_f32_e32 v16, 0x3ee1c552, v17
	;; [unrolled: 1-line block ×4, first 2 shown]
	v_add_f32_e32 v12, v18, v20
	v_sub_f32_e32 v13, v23, v16
	v_sub_f32_e32 v14, v19, v34
	v_add_f32_e32 v15, v33, v22
	ds_write2_b64 v63, v[12:13], v[14:15] offset0:14 offset1:21
	v_add_f32_e32 v12, v34, v19
	v_sub_f32_e32 v13, v22, v33
	v_sub_f32_e32 v14, v20, v18
	v_add_f32_e32 v15, v16, v23
	v_sub_f32_e32 v24, v35, v26
	v_add_f32_e32 v25, v21, v36
	ds_write2_b64 v63, v[12:13], v[14:15] offset0:28 offset1:35
	ds_write_b64 v63, v[24:25] offset:336
	s_waitcnt lgkmcnt(0)
	; wave barrier
	s_waitcnt lgkmcnt(0)
	ds_read2_b64 v[28:31], v59 offset1:21
	ds_read2_b64 v[36:39], v59 offset0:49 offset1:70
	ds_read2_b64 v[32:35], v59 offset0:98 offset1:119
	v_mov_b32_e32 v16, s13
	v_addc_co_u32_e32 v56, vcc, 0, v16, vcc
	v_cmp_gt_u16_e32 vcc, 7, v60
	s_and_saveexec_b64 s[0:1], vcc
	s_cbranch_execz .LBB0_3
; %bb.2:
	ds_read2_b64 v[24:27], v59 offset0:42 offset1:91
	ds_read_b64 v[57:58], v59 offset:1120
.LBB0_3:
	s_or_b64 exec, exec, s[0:1]
	v_lshlrev_b32_e32 v12, 4, v60
	global_load_dwordx4 v[16:19], v12, s[14:15] offset:336
	v_add_u32_e32 v12, 0x150, v12
	global_load_dwordx4 v[20:23], v12, s[14:15] offset:336
	v_add_co_u32_e64 v12, s[0:1], 42, v60
	v_add_co_u32_e64 v13, s[2:3], -7, v60
	v_addc_co_u32_e64 v15, s[0:1], 0, 0, s[0:1]
	v_addc_co_u32_e64 v65, s[0:1], 0, -1, s[2:3]
	v_cndmask_b32_e32 v12, v13, v12, vcc
	v_cndmask_b32_e32 v13, v65, v15, vcc
	v_lshlrev_b64 v[12:13], 4, v[12:13]
	v_mov_b32_e32 v14, s15
	v_add_co_u32_e64 v12, s[0:1], s14, v12
	v_addc_co_u32_e64 v13, s[0:1], v14, v13, s[0:1]
	global_load_dwordx4 v[12:15], v[12:13], off offset:336
	v_lshl_add_u32 v64, v60, 3, v64
	s_waitcnt vmcnt(2) lgkmcnt(1)
	v_mul_f32_e32 v65, v37, v17
	v_mul_f32_e32 v66, v36, v17
	s_waitcnt lgkmcnt(0)
	v_mul_f32_e32 v67, v33, v19
	v_mul_f32_e32 v68, v32, v19
	v_fma_f32 v36, v36, v16, -v65
	v_fmac_f32_e32 v66, v37, v16
	v_fma_f32 v32, v32, v18, -v67
	v_fmac_f32_e32 v68, v33, v18
	s_waitcnt vmcnt(1)
	v_mul_f32_e32 v33, v39, v21
	v_mul_f32_e32 v37, v38, v21
	;; [unrolled: 1-line block ×4, first 2 shown]
	v_fma_f32 v33, v38, v20, -v33
	v_fmac_f32_e32 v37, v39, v20
	v_fma_f32 v38, v34, v22, -v65
	v_fmac_f32_e32 v67, v35, v22
	v_add_f32_e32 v35, v36, v32
	v_sub_f32_e32 v65, v66, v68
	v_add_f32_e32 v39, v29, v66
	v_add_f32_e32 v66, v66, v68
	;; [unrolled: 1-line block ×3, first 2 shown]
	v_fma_f32 v28, -0.5, v35, v28
	v_fma_f32 v29, -0.5, v66, v29
	v_sub_f32_e32 v69, v36, v32
	v_add_f32_e32 v34, v34, v32
	v_add_f32_e32 v35, v39, v68
	;; [unrolled: 1-line block ×4, first 2 shown]
	v_sub_f32_e32 v68, v37, v67
	v_add_f32_e32 v66, v31, v37
	v_add_f32_e32 v70, v37, v67
	v_mov_b32_e32 v36, v28
	v_mov_b32_e32 v37, v29
	v_sub_f32_e32 v71, v33, v38
	v_fmac_f32_e32 v28, 0xbf5db3d7, v65
	v_fmac_f32_e32 v29, 0x3f5db3d7, v69
	v_add_f32_e32 v38, v32, v38
	v_fma_f32 v30, -0.5, v39, v30
	v_add_f32_e32 v39, v66, v67
	v_fmac_f32_e32 v36, 0x3f5db3d7, v65
	v_fmac_f32_e32 v37, 0xbf5db3d7, v69
	s_waitcnt vmcnt(0)
	v_mul_f32_e32 v67, v27, v13
	v_mul_f32_e32 v32, v26, v13
	;; [unrolled: 1-line block ×4, first 2 shown]
	ds_write2_b64 v64, v[36:37], v[28:29] offset0:49 offset1:98
	ds_write2_b64 v59, v[34:35], v[38:39] offset1:21
	v_fma_f32 v34, v26, v12, -v67
	v_fmac_f32_e32 v32, v27, v12
	v_fma_f32 v35, v57, v14, -v69
	v_fmac_f32_e32 v33, v58, v14
	v_add_f32_e32 v26, v34, v35
	v_add_f32_e32 v27, v32, v33
	v_fmac_f32_e32 v31, -0.5, v70
	v_fma_f32 v28, -0.5, v26, v24
	v_fma_f32 v29, -0.5, v27, v25
	v_mov_b32_e32 v65, v30
	v_mov_b32_e32 v66, v31
	v_sub_f32_e32 v36, v32, v33
	v_sub_f32_e32 v37, v34, v35
	v_mov_b32_e32 v26, v28
	v_mov_b32_e32 v27, v29
	v_fmac_f32_e32 v30, 0xbf5db3d7, v68
	v_fmac_f32_e32 v31, 0x3f5db3d7, v71
	;; [unrolled: 1-line block ×8, first 2 shown]
	ds_write2_b64 v59, v[65:66], v[30:31] offset0:70 offset1:119
	s_and_saveexec_b64 s[0:1], vcc
	s_cbranch_execz .LBB0_5
; %bb.4:
	v_add_f32_e32 v25, v25, v32
	v_add_f32_e32 v24, v24, v34
	;; [unrolled: 1-line block ×4, first 2 shown]
	ds_write_b64 v59, v[24:25] offset:336
	ds_write2_b64 v64, v[26:27], v[28:29] offset0:91 offset1:140
.LBB0_5:
	s_or_b64 exec, exec, s[0:1]
	s_waitcnt lgkmcnt(0)
	; wave barrier
	s_waitcnt lgkmcnt(0)
	global_load_dwordx2 v[24:25], v[55:56], off offset:1176
	s_add_u32 s0, s12, 0x498
	s_addc_u32 s1, s13, 0
	global_load_dwordx2 v[38:39], v61, s[0:1] offset:168
	global_load_dwordx2 v[65:66], v61, s[0:1] offset:336
	;; [unrolled: 1-line block ×6, first 2 shown]
	ds_read2_b64 v[30:33], v59 offset1:21
	ds_read2_b64 v[34:37], v59 offset0:42 offset1:63
	ds_read2_b64 v[55:58], v59 offset0:84 offset1:105
	ds_read_b64 v[75:76], v59 offset:1008
	s_mov_b32 s0, 0xbf5ff5aa
	s_mov_b32 s1, 0x3f3bfb3b
	;; [unrolled: 1-line block ×4, first 2 shown]
	s_waitcnt vmcnt(6) lgkmcnt(3)
	v_mul_f32_e32 v61, v31, v25
	v_mul_f32_e32 v78, v30, v25
	v_fma_f32 v77, v30, v24, -v61
	v_fmac_f32_e32 v78, v31, v24
	s_waitcnt vmcnt(5)
	v_mul_f32_e32 v24, v33, v39
	v_mul_f32_e32 v25, v32, v39
	s_waitcnt vmcnt(4) lgkmcnt(2)
	v_mul_f32_e32 v30, v35, v66
	v_mul_f32_e32 v31, v34, v66
	s_waitcnt vmcnt(3)
	v_mul_f32_e32 v61, v37, v68
	v_mul_f32_e32 v39, v36, v68
	s_waitcnt vmcnt(2) lgkmcnt(1)
	v_mul_f32_e32 v79, v56, v70
	v_mul_f32_e32 v66, v55, v70
	;; [unrolled: 6-line block ×3, first 2 shown]
	v_fma_f32 v24, v32, v38, -v24
	v_fmac_f32_e32 v25, v33, v38
	v_fma_f32 v30, v34, v65, -v30
	v_fmac_f32_e32 v31, v35, v65
	;; [unrolled: 2-line block ×6, first 2 shown]
	ds_write2_b64 v59, v[77:78], v[24:25] offset1:21
	ds_write2_b64 v59, v[30:31], v[38:39] offset0:42 offset1:63
	ds_write2_b64 v59, v[65:66], v[67:68] offset0:84 offset1:105
	ds_write_b64 v59, v[69:70] offset:1008
	s_waitcnt lgkmcnt(0)
	; wave barrier
	s_waitcnt lgkmcnt(0)
	ds_read2_b64 v[30:33], v59 offset1:21
	ds_read_b64 v[24:25], v59 offset:1008
	ds_read2_b64 v[34:37], v59 offset0:42 offset1:63
	ds_read2_b64 v[55:58], v59 offset0:84 offset1:105
	s_waitcnt lgkmcnt(0)
	; wave barrier
	s_waitcnt lgkmcnt(0)
	v_add_f32_e32 v38, v32, v24
	v_sub_f32_e32 v24, v32, v24
	v_add_f32_e32 v32, v34, v57
	v_add_f32_e32 v39, v33, v25
	v_sub_f32_e32 v25, v33, v25
	v_add_f32_e32 v33, v35, v58
	v_sub_f32_e32 v34, v34, v57
	;; [unrolled: 2-line block ×5, first 2 shown]
	v_add_f32_e32 v56, v33, v39
	v_add_f32_e32 v66, v36, v34
	;; [unrolled: 1-line block ×3, first 2 shown]
	v_sub_f32_e32 v61, v32, v38
	v_sub_f32_e32 v38, v38, v57
	;; [unrolled: 1-line block ×3, first 2 shown]
	v_add_f32_e32 v67, v37, v35
	v_sub_f32_e32 v68, v36, v34
	v_sub_f32_e32 v36, v24, v36
	;; [unrolled: 1-line block ×3, first 2 shown]
	v_add_f32_e32 v56, v58, v56
	v_add_f32_e32 v57, v66, v24
	v_add_f32_e32 v24, v30, v55
	v_sub_f32_e32 v65, v33, v39
	v_sub_f32_e32 v39, v39, v58
	;; [unrolled: 1-line block ×6, first 2 shown]
	v_add_f32_e32 v58, v67, v25
	v_add_f32_e32 v25, v31, v56
	v_mov_b32_e32 v70, v24
	v_mul_f32_e32 v38, 0x3f4a47b2, v38
	v_mul_f32_e32 v39, 0x3f4a47b2, v39
	;; [unrolled: 1-line block ×8, first 2 shown]
	v_fmac_f32_e32 v70, 0xbf955555, v55
	v_mov_b32_e32 v55, v25
	v_fmac_f32_e32 v55, 0xbf955555, v56
	v_fma_f32 v56, v61, s1, -v66
	v_fma_f32 v66, v65, s1, -v67
	;; [unrolled: 1-line block ×3, first 2 shown]
	v_fmac_f32_e32 v38, 0x3d64c772, v32
	v_fma_f32 v32, v65, s2, -v39
	v_fmac_f32_e32 v39, 0x3d64c772, v33
	v_fma_f32 v65, v34, s0, -v68
	v_fmac_f32_e32 v68, 0xbeae86e6, v36
	v_fma_f32 v67, v35, s0, -v69
	v_fmac_f32_e32 v69, 0xbeae86e6, v37
	v_fma_f32 v71, v36, s3, -v30
	v_fma_f32 v72, v37, s3, -v31
	v_add_f32_e32 v73, v38, v70
	v_add_f32_e32 v74, v39, v55
	;; [unrolled: 1-line block ×6, first 2 shown]
	v_fmac_f32_e32 v68, 0xbee1c552, v57
	v_fmac_f32_e32 v69, 0xbee1c552, v58
	;; [unrolled: 1-line block ×6, first 2 shown]
	v_add_f32_e32 v30, v73, v69
	v_sub_f32_e32 v31, v74, v68
	v_add_f32_e32 v32, v72, v38
	v_sub_f32_e32 v33, v39, v71
	v_sub_f32_e32 v34, v36, v67
	v_add_f32_e32 v35, v65, v37
	v_add_f32_e32 v36, v67, v36
	v_sub_f32_e32 v37, v37, v65
	v_sub_f32_e32 v55, v73, v69
	v_add_f32_e32 v56, v68, v74
	v_sub_f32_e32 v38, v38, v72
	v_add_f32_e32 v39, v71, v39
	ds_write2_b64 v62, v[24:25], v[30:31] offset1:1
	ds_write2_b64 v62, v[32:33], v[34:35] offset0:2 offset1:3
	ds_write2_b64 v62, v[36:37], v[38:39] offset0:4 offset1:5
	ds_write_b64 v62, v[55:56] offset:48
	s_waitcnt lgkmcnt(0)
	; wave barrier
	s_waitcnt lgkmcnt(0)
	ds_read2_b64 v[30:33], v59 offset1:21
	ds_read2_b64 v[34:37], v59 offset0:42 offset1:63
	ds_read2_b64 v[55:58], v59 offset0:84 offset1:105
	ds_read_b64 v[24:25], v59 offset:1008
	s_waitcnt lgkmcnt(0)
	v_mul_f32_e32 v38, v5, v33
	v_mul_f32_e32 v5, v5, v32
	v_fmac_f32_e32 v38, v4, v32
	v_fma_f32 v4, v4, v33, -v5
	v_mul_f32_e32 v5, v7, v35
	v_mul_f32_e32 v7, v7, v34
	v_fmac_f32_e32 v5, v6, v34
	v_fma_f32 v6, v6, v35, -v7
	;; [unrolled: 4-line block ×6, first 2 shown]
	v_add_f32_e32 v11, v38, v9
	v_add_f32_e32 v24, v4, v10
	v_sub_f32_e32 v4, v4, v10
	v_add_f32_e32 v10, v5, v3
	v_add_f32_e32 v25, v6, v8
	v_sub_f32_e32 v3, v5, v3
	v_sub_f32_e32 v5, v6, v8
	v_add_f32_e32 v6, v7, v1
	v_add_f32_e32 v8, v0, v2
	v_sub_f32_e32 v0, v2, v0
	v_add_f32_e32 v2, v10, v11
	v_sub_f32_e32 v1, v1, v7
	v_add_f32_e32 v7, v25, v24
	v_add_f32_e32 v2, v6, v2
	v_sub_f32_e32 v9, v38, v9
	v_sub_f32_e32 v32, v10, v11
	;; [unrolled: 1-line block ×4, first 2 shown]
	v_add_f32_e32 v35, v0, v5
	v_sub_f32_e32 v36, v1, v3
	v_sub_f32_e32 v37, v0, v5
	;; [unrolled: 1-line block ×3, first 2 shown]
	v_add_f32_e32 v6, v8, v7
	v_add_f32_e32 v0, v30, v2
	v_sub_f32_e32 v33, v25, v24
	v_sub_f32_e32 v24, v24, v8
	;; [unrolled: 1-line block ×3, first 2 shown]
	v_add_f32_e32 v34, v1, v3
	v_sub_f32_e32 v38, v9, v1
	v_sub_f32_e32 v3, v3, v9
	;; [unrolled: 1-line block ×3, first 2 shown]
	v_add_f32_e32 v1, v31, v6
	v_mul_f32_e32 v30, 0x3f08b237, v36
	v_mov_b32_e32 v36, v0
	v_add_f32_e32 v7, v34, v9
	v_add_f32_e32 v4, v35, v4
	v_mul_f32_e32 v8, 0x3f4a47b2, v11
	v_mul_f32_e32 v9, 0x3f4a47b2, v24
	;; [unrolled: 1-line block ×7, first 2 shown]
	v_fmac_f32_e32 v36, 0xbf955555, v2
	v_mov_b32_e32 v2, v1
	v_fmac_f32_e32 v2, 0xbf955555, v6
	v_fma_f32 v6, v32, s1, -v11
	v_fma_f32 v11, v33, s1, -v24
	;; [unrolled: 1-line block ×3, first 2 shown]
	v_fmac_f32_e32 v8, 0x3d64c772, v10
	v_fma_f32 v10, v33, s2, -v9
	v_fmac_f32_e32 v9, 0x3d64c772, v25
	v_fma_f32 v25, v3, s0, -v30
	v_fmac_f32_e32 v30, 0xbeae86e6, v38
	v_fma_f32 v32, v5, s0, -v31
	v_fmac_f32_e32 v31, 0xbeae86e6, v39
	v_fma_f32 v33, v38, s3, -v34
	v_fma_f32 v34, v39, s3, -v35
	v_add_f32_e32 v35, v8, v36
	v_add_f32_e32 v37, v9, v2
	;; [unrolled: 1-line block ×6, first 2 shown]
	v_fmac_f32_e32 v30, 0xbee1c552, v7
	v_fmac_f32_e32 v31, 0xbee1c552, v4
	;; [unrolled: 1-line block ×6, first 2 shown]
	v_add_f32_e32 v2, v31, v35
	v_sub_f32_e32 v3, v37, v30
	v_add_f32_e32 v4, v34, v11
	v_sub_f32_e32 v5, v24, v33
	v_sub_f32_e32 v6, v8, v32
	v_add_f32_e32 v7, v25, v9
	v_add_f32_e32 v8, v32, v8
	v_sub_f32_e32 v9, v9, v25
	v_sub_f32_e32 v10, v11, v34
	v_add_f32_e32 v11, v33, v24
	v_sub_f32_e32 v24, v35, v31
	v_add_f32_e32 v25, v30, v37
	; wave barrier
	ds_write2_b64 v63, v[0:1], v[2:3] offset1:7
	ds_write2_b64 v63, v[4:5], v[6:7] offset0:14 offset1:21
	ds_write2_b64 v63, v[8:9], v[10:11] offset0:28 offset1:35
	ds_write_b64 v63, v[24:25] offset:336
	s_waitcnt lgkmcnt(0)
	; wave barrier
	s_waitcnt lgkmcnt(0)
	ds_read2_b64 v[0:3], v59 offset1:21
	ds_read2_b64 v[8:11], v59 offset0:49 offset1:70
	ds_read2_b64 v[4:7], v59 offset0:98 offset1:119
	v_add_u32_e32 v30, 0xa8, v59
	s_and_saveexec_b64 s[0:1], vcc
	s_cbranch_execz .LBB0_7
; %bb.6:
	ds_read2_b64 v[24:27], v59 offset0:42 offset1:91
	ds_read_b64 v[28:29], v59 offset:1120
.LBB0_7:
	s_or_b64 exec, exec, s[0:1]
	s_waitcnt lgkmcnt(1)
	v_mul_f32_e32 v31, v17, v9
	v_fmac_f32_e32 v31, v16, v8
	v_mul_f32_e32 v8, v17, v8
	v_fma_f32 v8, v16, v9, -v8
	s_waitcnt lgkmcnt(0)
	v_mul_f32_e32 v9, v19, v5
	v_fmac_f32_e32 v9, v18, v4
	v_mul_f32_e32 v4, v19, v4
	v_fma_f32 v16, v18, v5, -v4
	v_mul_f32_e32 v4, v21, v10
	v_mul_f32_e32 v17, v21, v11
	v_fma_f32 v11, v20, v11, -v4
	v_mul_f32_e32 v4, v23, v6
	v_add_f32_e32 v5, v31, v9
	v_mul_f32_e32 v18, v23, v7
	v_fma_f32 v19, v22, v7, -v4
	v_add_f32_e32 v4, v0, v31
	v_fma_f32 v0, -0.5, v5, v0
	v_fmac_f32_e32 v18, v22, v6
	v_sub_f32_e32 v5, v8, v16
	v_mov_b32_e32 v6, v0
	v_add_f32_e32 v7, v8, v16
	v_fmac_f32_e32 v17, v20, v10
	v_fmac_f32_e32 v6, 0xbf5db3d7, v5
	;; [unrolled: 1-line block ×3, first 2 shown]
	v_add_f32_e32 v5, v1, v8
	v_fma_f32 v1, -0.5, v7, v1
	v_add_f32_e32 v4, v4, v9
	v_sub_f32_e32 v8, v31, v9
	v_mov_b32_e32 v7, v1
	v_add_f32_e32 v9, v17, v18
	v_fmac_f32_e32 v7, 0x3f5db3d7, v8
	v_fmac_f32_e32 v1, 0xbf5db3d7, v8
	v_add_f32_e32 v8, v2, v17
	v_fma_f32 v2, -0.5, v9, v2
	v_sub_f32_e32 v9, v11, v19
	v_mov_b32_e32 v10, v2
	v_fmac_f32_e32 v10, 0xbf5db3d7, v9
	v_fmac_f32_e32 v2, 0x3f5db3d7, v9
	v_add_f32_e32 v9, v3, v11
	v_add_f32_e32 v11, v11, v19
	v_fmac_f32_e32 v3, -0.5, v11
	v_add_f32_e32 v5, v5, v16
	v_sub_f32_e32 v16, v17, v18
	v_mov_b32_e32 v11, v3
	v_add_f32_e32 v8, v8, v18
	v_add_f32_e32 v9, v9, v19
	v_fmac_f32_e32 v11, 0x3f5db3d7, v16
	v_fmac_f32_e32 v3, 0xbf5db3d7, v16
	ds_write_b64 v59, v[4:5]
	ds_write2_b64 v64, v[6:7], v[0:1] offset0:49 offset1:98
	ds_write_b64 v59, v[8:9] offset:168
	ds_write2_b64 v30, v[10:11], v[2:3] offset0:49 offset1:98
	s_and_saveexec_b64 s[0:1], vcc
	s_cbranch_execz .LBB0_9
; %bb.8:
	v_mul_f32_e32 v0, v13, v26
	v_fma_f32 v2, v12, v27, -v0
	v_mul_f32_e32 v0, v15, v28
	v_fma_f32 v4, v14, v29, -v0
	v_add_f32_e32 v0, v2, v4
	v_mul_f32_e32 v6, v13, v27
	v_mul_f32_e32 v7, v15, v29
	v_fma_f32 v1, -0.5, v0, v25
	v_fmac_f32_e32 v6, v12, v26
	v_fmac_f32_e32 v7, v14, v28
	v_sub_f32_e32 v0, v6, v7
	v_mov_b32_e32 v3, v1
	v_fmac_f32_e32 v3, 0xbf5db3d7, v0
	v_fmac_f32_e32 v1, 0x3f5db3d7, v0
	v_add_f32_e32 v0, v25, v2
	v_add_f32_e32 v5, v0, v4
	;; [unrolled: 1-line block ×3, first 2 shown]
	v_fma_f32 v0, -0.5, v0, v24
	v_sub_f32_e32 v4, v2, v4
	v_mov_b32_e32 v2, v0
	v_fmac_f32_e32 v2, 0x3f5db3d7, v4
	v_fmac_f32_e32 v0, 0xbf5db3d7, v4
	v_add_f32_e32 v4, v24, v6
	v_add_f32_e32 v4, v4, v7
	ds_write_b64 v59, v[4:5] offset:336
	ds_write2_b64 v64, v[0:1], v[2:3] offset0:91 offset1:140
.LBB0_9:
	s_or_b64 exec, exec, s[0:1]
	s_waitcnt lgkmcnt(0)
	; wave barrier
	s_waitcnt lgkmcnt(0)
	ds_read2_b64 v[0:3], v59 offset1:21
	v_mad_u64_u32 v[4:5], s[0:1], s10, v40, 0
	s_mov_b32 s0, 0x899406f7
	s_mov_b32 s1, 0x3f7bdd2b
	s_waitcnt lgkmcnt(0)
	v_mul_f32_e32 v6, v52, v1
	v_fmac_f32_e32 v6, v51, v0
	v_cvt_f64_f32_e32 v[6:7], v6
	v_mul_f32_e32 v0, v52, v0
	v_fma_f32 v0, v51, v1, -v0
	v_cvt_f64_f32_e32 v[0:1], v0
	v_mul_f64 v[6:7], v[6:7], s[0:1]
	v_mad_u64_u32 v[8:9], s[2:3], s8, v60, 0
	v_mul_f64 v[0:1], v[0:1], s[0:1]
	v_mad_u64_u32 v[10:11], s[2:3], s11, v40, v[5:6]
	v_mov_b32_e32 v5, v9
	v_mad_u64_u32 v[11:12], s[2:3], s9, v60, v[5:6]
	v_mov_b32_e32 v5, v10
	v_cvt_f32_f64_e32 v6, v[6:7]
	v_cvt_f32_f64_e32 v7, v[0:1]
	v_lshlrev_b64 v[0:1], 3, v[4:5]
	v_mul_f32_e32 v4, v54, v3
	v_fmac_f32_e32 v4, v53, v2
	v_mul_f32_e32 v2, v54, v2
	v_fma_f32 v2, v53, v3, -v2
	v_mov_b32_e32 v9, v11
	v_mov_b32_e32 v10, s5
	v_cvt_f64_f32_e32 v[2:3], v2
	v_add_co_u32_e32 v11, vcc, s4, v0
	v_addc_co_u32_e32 v12, vcc, v10, v1, vcc
	v_lshlrev_b64 v[0:1], 3, v[8:9]
	v_mul_f64 v[8:9], v[2:3], s[0:1]
	v_add_co_u32_e32 v10, vcc, v11, v0
	v_addc_co_u32_e32 v11, vcc, v12, v1, vcc
	ds_read2_b64 v[0:3], v59 offset0:42 offset1:63
	v_cvt_f64_f32_e32 v[4:5], v4
	global_store_dwordx2 v[10:11], v[6:7], off
	s_mul_i32 s2, s9, 0xa8
	s_mul_hi_u32 s3, s8, 0xa8
	s_waitcnt lgkmcnt(0)
	v_mul_f32_e32 v6, v50, v1
	v_fmac_f32_e32 v6, v49, v0
	v_mul_f32_e32 v0, v50, v0
	v_fma_f32 v0, v49, v1, -v0
	v_mul_f64 v[4:5], v[4:5], s[0:1]
	v_cvt_f64_f32_e32 v[0:1], v0
	v_cvt_f64_f32_e32 v[6:7], v6
	s_add_i32 s2, s3, s2
	s_mul_i32 s3, s8, 0xa8
	v_mul_f64 v[0:1], v[0:1], s[0:1]
	v_mul_f64 v[6:7], v[6:7], s[0:1]
	v_mov_b32_e32 v12, s2
	v_cvt_f32_f64_e32 v4, v[4:5]
	v_cvt_f32_f64_e32 v5, v[8:9]
	v_mov_b32_e32 v9, s2
	v_add_co_u32_e32 v8, vcc, s3, v10
	v_addc_co_u32_e32 v9, vcc, v11, v9, vcc
	global_store_dwordx2 v[8:9], v[4:5], off
	v_cvt_f32_f64_e32 v5, v[0:1]
	v_mul_f32_e32 v0, v48, v3
	v_fmac_f32_e32 v0, v47, v2
	v_cvt_f32_f64_e32 v4, v[6:7]
	v_cvt_f64_f32_e32 v[6:7], v0
	v_mul_f32_e32 v0, v48, v2
	v_fma_f32 v0, v47, v3, -v0
	v_cvt_f64_f32_e32 v[10:11], v0
	ds_read2_b64 v[0:3], v59 offset0:84 offset1:105
	v_add_co_u32_e32 v8, vcc, s3, v8
	v_addc_co_u32_e32 v9, vcc, v9, v12, vcc
	global_store_dwordx2 v[8:9], v[4:5], off
	v_mul_f64 v[4:5], v[6:7], s[0:1]
	v_mul_f64 v[6:7], v[10:11], s[0:1]
	s_waitcnt lgkmcnt(0)
	v_mul_f32_e32 v10, v46, v1
	v_fmac_f32_e32 v10, v45, v0
	v_mul_f32_e32 v0, v46, v0
	v_fma_f32 v0, v45, v1, -v0
	v_cvt_f64_f32_e32 v[0:1], v0
	v_cvt_f64_f32_e32 v[10:11], v10
	v_cvt_f32_f64_e32 v4, v[4:5]
	v_cvt_f32_f64_e32 v5, v[6:7]
	v_mul_f64 v[0:1], v[0:1], s[0:1]
	v_mul_f64 v[6:7], v[10:11], s[0:1]
	v_mov_b32_e32 v10, s2
	v_add_co_u32_e32 v8, vcc, s3, v8
	v_addc_co_u32_e32 v9, vcc, v9, v10, vcc
	global_store_dwordx2 v[8:9], v[4:5], off
	v_cvt_f32_f64_e32 v5, v[0:1]
	v_mul_f32_e32 v0, v44, v3
	v_fmac_f32_e32 v0, v43, v2
	v_mul_f32_e32 v2, v44, v2
	v_fma_f32 v2, v43, v3, -v2
	v_cvt_f32_f64_e32 v4, v[6:7]
	v_cvt_f64_f32_e32 v[0:1], v0
	v_cvt_f64_f32_e32 v[2:3], v2
	ds_read_b64 v[6:7], v59 offset:1008
	v_add_co_u32_e32 v8, vcc, s3, v8
	v_addc_co_u32_e32 v9, vcc, v9, v10, vcc
	v_mul_f64 v[0:1], v[0:1], s[0:1]
	v_mul_f64 v[2:3], v[2:3], s[0:1]
	global_store_dwordx2 v[8:9], v[4:5], off
	s_waitcnt lgkmcnt(0)
	v_mul_f32_e32 v4, v42, v7
	v_fmac_f32_e32 v4, v41, v6
	v_mul_f32_e32 v6, v42, v6
	v_fma_f32 v6, v41, v7, -v6
	v_cvt_f64_f32_e32 v[4:5], v4
	v_cvt_f64_f32_e32 v[6:7], v6
	v_cvt_f32_f64_e32 v0, v[0:1]
	v_cvt_f32_f64_e32 v1, v[2:3]
	v_mul_f64 v[2:3], v[4:5], s[0:1]
	v_mul_f64 v[4:5], v[6:7], s[0:1]
	v_mov_b32_e32 v7, s2
	v_add_co_u32_e32 v6, vcc, s3, v8
	v_addc_co_u32_e32 v7, vcc, v9, v7, vcc
	global_store_dwordx2 v[6:7], v[0:1], off
	v_cvt_f32_f64_e32 v0, v[2:3]
	v_cvt_f32_f64_e32 v1, v[4:5]
	v_mov_b32_e32 v3, s2
	v_add_co_u32_e32 v2, vcc, s3, v6
	v_addc_co_u32_e32 v3, vcc, v7, v3, vcc
	global_store_dwordx2 v[2:3], v[0:1], off
.LBB0_10:
	s_endpgm
	.section	.rodata,"a",@progbits
	.p2align	6, 0x0
	.amdhsa_kernel bluestein_single_fwd_len147_dim1_sp_op_CI_CI
		.amdhsa_group_segment_fixed_size 3528
		.amdhsa_private_segment_fixed_size 0
		.amdhsa_kernarg_size 104
		.amdhsa_user_sgpr_count 6
		.amdhsa_user_sgpr_private_segment_buffer 1
		.amdhsa_user_sgpr_dispatch_ptr 0
		.amdhsa_user_sgpr_queue_ptr 0
		.amdhsa_user_sgpr_kernarg_segment_ptr 1
		.amdhsa_user_sgpr_dispatch_id 0
		.amdhsa_user_sgpr_flat_scratch_init 0
		.amdhsa_user_sgpr_private_segment_size 0
		.amdhsa_uses_dynamic_stack 0
		.amdhsa_system_sgpr_private_segment_wavefront_offset 0
		.amdhsa_system_sgpr_workgroup_id_x 1
		.amdhsa_system_sgpr_workgroup_id_y 0
		.amdhsa_system_sgpr_workgroup_id_z 0
		.amdhsa_system_sgpr_workgroup_info 0
		.amdhsa_system_vgpr_workitem_id 0
		.amdhsa_next_free_vgpr 81
		.amdhsa_next_free_sgpr 20
		.amdhsa_reserve_vcc 1
		.amdhsa_reserve_flat_scratch 0
		.amdhsa_float_round_mode_32 0
		.amdhsa_float_round_mode_16_64 0
		.amdhsa_float_denorm_mode_32 3
		.amdhsa_float_denorm_mode_16_64 3
		.amdhsa_dx10_clamp 1
		.amdhsa_ieee_mode 1
		.amdhsa_fp16_overflow 0
		.amdhsa_exception_fp_ieee_invalid_op 0
		.amdhsa_exception_fp_denorm_src 0
		.amdhsa_exception_fp_ieee_div_zero 0
		.amdhsa_exception_fp_ieee_overflow 0
		.amdhsa_exception_fp_ieee_underflow 0
		.amdhsa_exception_fp_ieee_inexact 0
		.amdhsa_exception_int_div_zero 0
	.end_amdhsa_kernel
	.text
.Lfunc_end0:
	.size	bluestein_single_fwd_len147_dim1_sp_op_CI_CI, .Lfunc_end0-bluestein_single_fwd_len147_dim1_sp_op_CI_CI
                                        ; -- End function
	.section	.AMDGPU.csdata,"",@progbits
; Kernel info:
; codeLenInByte = 5300
; NumSgprs: 24
; NumVgprs: 81
; ScratchSize: 0
; MemoryBound: 0
; FloatMode: 240
; IeeeMode: 1
; LDSByteSize: 3528 bytes/workgroup (compile time only)
; SGPRBlocks: 2
; VGPRBlocks: 20
; NumSGPRsForWavesPerEU: 24
; NumVGPRsForWavesPerEU: 81
; Occupancy: 3
; WaveLimiterHint : 1
; COMPUTE_PGM_RSRC2:SCRATCH_EN: 0
; COMPUTE_PGM_RSRC2:USER_SGPR: 6
; COMPUTE_PGM_RSRC2:TRAP_HANDLER: 0
; COMPUTE_PGM_RSRC2:TGID_X_EN: 1
; COMPUTE_PGM_RSRC2:TGID_Y_EN: 0
; COMPUTE_PGM_RSRC2:TGID_Z_EN: 0
; COMPUTE_PGM_RSRC2:TIDIG_COMP_CNT: 0
	.type	__hip_cuid_c59b6d437f384f1f,@object ; @__hip_cuid_c59b6d437f384f1f
	.section	.bss,"aw",@nobits
	.globl	__hip_cuid_c59b6d437f384f1f
__hip_cuid_c59b6d437f384f1f:
	.byte	0                               ; 0x0
	.size	__hip_cuid_c59b6d437f384f1f, 1

	.ident	"AMD clang version 19.0.0git (https://github.com/RadeonOpenCompute/llvm-project roc-6.4.0 25133 c7fe45cf4b819c5991fe208aaa96edf142730f1d)"
	.section	".note.GNU-stack","",@progbits
	.addrsig
	.addrsig_sym __hip_cuid_c59b6d437f384f1f
	.amdgpu_metadata
---
amdhsa.kernels:
  - .args:
      - .actual_access:  read_only
        .address_space:  global
        .offset:         0
        .size:           8
        .value_kind:     global_buffer
      - .actual_access:  read_only
        .address_space:  global
        .offset:         8
        .size:           8
        .value_kind:     global_buffer
      - .actual_access:  read_only
        .address_space:  global
        .offset:         16
        .size:           8
        .value_kind:     global_buffer
      - .actual_access:  read_only
        .address_space:  global
        .offset:         24
        .size:           8
        .value_kind:     global_buffer
      - .actual_access:  read_only
        .address_space:  global
        .offset:         32
        .size:           8
        .value_kind:     global_buffer
      - .offset:         40
        .size:           8
        .value_kind:     by_value
      - .address_space:  global
        .offset:         48
        .size:           8
        .value_kind:     global_buffer
      - .address_space:  global
        .offset:         56
        .size:           8
        .value_kind:     global_buffer
      - .address_space:  global
        .offset:         64
        .size:           8
        .value_kind:     global_buffer
      - .address_space:  global
        .offset:         72
        .size:           8
        .value_kind:     global_buffer
      - .offset:         80
        .size:           4
        .value_kind:     by_value
      - .address_space:  global
        .offset:         88
        .size:           8
        .value_kind:     global_buffer
      - .address_space:  global
        .offset:         96
        .size:           8
        .value_kind:     global_buffer
    .group_segment_fixed_size: 3528
    .kernarg_segment_align: 8
    .kernarg_segment_size: 104
    .language:       OpenCL C
    .language_version:
      - 2
      - 0
    .max_flat_workgroup_size: 63
    .name:           bluestein_single_fwd_len147_dim1_sp_op_CI_CI
    .private_segment_fixed_size: 0
    .sgpr_count:     24
    .sgpr_spill_count: 0
    .symbol:         bluestein_single_fwd_len147_dim1_sp_op_CI_CI.kd
    .uniform_work_group_size: 1
    .uses_dynamic_stack: false
    .vgpr_count:     81
    .vgpr_spill_count: 0
    .wavefront_size: 64
amdhsa.target:   amdgcn-amd-amdhsa--gfx906
amdhsa.version:
  - 1
  - 2
...

	.end_amdgpu_metadata
